;; amdgpu-corpus repo=ROCm/rocFFT kind=compiled arch=gfx1201 opt=O3
	.text
	.amdgcn_target "amdgcn-amd-amdhsa--gfx1201"
	.amdhsa_code_object_version 6
	.protected	fft_rtc_fwd_len100_factors_10_2_5_wgs_120_tpt_10_halfLds_dim3_dp_op_CI_CI_sbcc_twdbase5_3step_dirReg ; -- Begin function fft_rtc_fwd_len100_factors_10_2_5_wgs_120_tpt_10_halfLds_dim3_dp_op_CI_CI_sbcc_twdbase5_3step_dirReg
	.globl	fft_rtc_fwd_len100_factors_10_2_5_wgs_120_tpt_10_halfLds_dim3_dp_op_CI_CI_sbcc_twdbase5_3step_dirReg
	.p2align	8
	.type	fft_rtc_fwd_len100_factors_10_2_5_wgs_120_tpt_10_halfLds_dim3_dp_op_CI_CI_sbcc_twdbase5_3step_dirReg,@function
fft_rtc_fwd_len100_factors_10_2_5_wgs_120_tpt_10_halfLds_dim3_dp_op_CI_CI_sbcc_twdbase5_3step_dirReg: ; @fft_rtc_fwd_len100_factors_10_2_5_wgs_120_tpt_10_halfLds_dim3_dp_op_CI_CI_sbcc_twdbase5_3step_dirReg
; %bb.0:
	s_load_b64 s[2:3], s[0:1], 0x10
	s_mov_b32 s18, ttmp9
	s_mov_b32 s4, exec_lo
	v_cmpx_gt_u32_e32 0x60, v0
	s_cbranch_execz .LBB0_2
; %bb.1:
	s_load_b64 s[6:7], s[0:1], 0x8
	v_lshlrev_b32_e32 v5, 4, v0
	s_wait_kmcnt 0x0
	global_load_b128 v[1:4], v5, s[6:7]
	v_add3_u32 v5, 0, v5, 0x2580
	s_wait_loadcnt 0x0
	ds_store_2addr_b64 v5, v[1:2], v[3:4] offset1:1
.LBB0_2:
	s_or_b32 exec_lo, exec_lo, s4
	s_mov_b32 s19, 0
	s_mov_b32 s4, 0x55540000
	s_movk_i32 s5, 0x55
	s_mov_b32 s6, s19
	s_mov_b32 s7, s19
	s_wait_kmcnt 0x0
	s_load_b64 s[28:29], s[2:3], 0x8
	s_add_nc_u64 s[4:5], s[6:7], s[4:5]
	s_mov_b32 s11, s19
	s_add_co_i32 s5, s5, 0x15555500
	s_mov_b64 s[22:23], 0
	s_mul_u64 s[6:7], s[4:5], -12
	s_delay_alu instid0(SALU_CYCLE_1)
	s_mul_hi_u32 s9, s4, s7
	s_mul_i32 s8, s4, s7
	s_mul_hi_u32 s10, s4, s6
	s_mul_hi_u32 s12, s5, s6
	s_mul_i32 s6, s5, s6
	s_add_nc_u64 s[8:9], s[10:11], s[8:9]
	s_mul_hi_u32 s10, s5, s7
	s_add_co_u32 s6, s8, s6
	s_add_co_ci_u32 s6, s9, s12
	s_add_co_ci_u32 s9, s10, 0
	s_mul_i32 s8, s5, s7
	s_mov_b32 s7, s19
	s_delay_alu instid0(SALU_CYCLE_1) | instskip(SKIP_3) | instid1(VALU_DEP_1)
	s_add_nc_u64 s[6:7], s[6:7], s[8:9]
	s_wait_kmcnt 0x0
	s_add_nc_u64 s[8:9], s[28:29], -1
	v_add_co_u32 v1, s4, s4, s6
	s_cmp_lg_u32 s4, 0
	s_add_co_ci_u32 s11, s5, s7
	s_delay_alu instid0(VALU_DEP_1) | instskip(SKIP_3) | instid1(VALU_DEP_1)
	v_readfirstlane_b32 s10, v1
	s_mul_hi_u32 s5, s8, s11
	s_mul_i32 s4, s8, s11
	s_mov_b32 s7, s19
	s_mul_hi_u32 s6, s8, s10
	s_wait_alu 0xfffe
	s_add_nc_u64 s[4:5], s[6:7], s[4:5]
	s_mul_i32 s7, s9, s10
	s_mul_hi_u32 s10, s9, s10
	s_mul_hi_u32 s6, s9, s11
	s_wait_alu 0xfffe
	s_add_co_u32 s4, s4, s7
	s_add_co_ci_u32 s4, s5, s10
	s_add_co_ci_u32 s7, s6, 0
	s_mul_i32 s6, s9, s11
	s_mov_b32 s5, s19
	s_wait_alu 0xfffe
	s_add_nc_u64 s[6:7], s[4:5], s[6:7]
	s_wait_alu 0xfffe
	s_mul_u64 s[4:5], s[6:7], 12
	s_wait_alu 0xfffe
	v_sub_co_u32 v1, s4, s8, s4
	s_delay_alu instid0(VALU_DEP_1) | instskip(SKIP_1) | instid1(VALU_DEP_1)
	s_cmp_lg_u32 s4, 0
	s_sub_co_ci_u32 s10, s9, s5
	v_sub_co_u32 v2, s8, v1, 12
	s_delay_alu instid0(VALU_DEP_1) | instskip(SKIP_2) | instid1(VALU_DEP_2)
	s_cmp_lg_u32 s8, 0
	v_readfirstlane_b32 s12, v1
	s_sub_co_ci_u32 s8, s10, 0
	v_readfirstlane_b32 s4, v2
	s_delay_alu instid0(VALU_DEP_1)
	s_cmp_gt_u32 s4, 11
	s_add_nc_u64 s[4:5], s[6:7], 1
	s_cselect_b32 s11, -1, 0
	s_wait_alu 0xfffe
	s_cmp_eq_u32 s8, 0
	s_add_nc_u64 s[8:9], s[6:7], 2
	s_cselect_b32 s11, s11, -1
	s_delay_alu instid0(SALU_CYCLE_1)
	s_cmp_lg_u32 s11, 0
	s_wait_alu 0xfffe
	s_cselect_b32 s8, s8, s4
	s_cselect_b32 s9, s9, s5
	s_cmp_gt_u32 s12, 11
	s_load_b64 s[4:5], s[0:1], 0x18
	s_cselect_b32 s11, -1, 0
	s_cmp_eq_u32 s10, 0
	s_cselect_b32 s10, s11, -1
	s_delay_alu instid0(SALU_CYCLE_1) | instskip(SKIP_4) | instid1(SALU_CYCLE_1)
	s_cmp_lg_u32 s10, 0
	s_cselect_b32 s7, s9, s7
	s_cselect_b32 s6, s8, s6
	s_wait_alu 0xfffe
	s_add_nc_u64 s[20:21], s[6:7], 1
	v_cmp_lt_u64_e64 s6, s[18:19], s[20:21]
	s_delay_alu instid0(VALU_DEP_1)
	s_and_b32 vcc_lo, exec_lo, s6
	s_cbranch_vccnz .LBB0_4
; %bb.3:
	v_cvt_f32_u32_e32 v1, s20
	s_sub_co_i32 s7, 0, s20
	s_mov_b32 s23, s19
	s_delay_alu instid0(VALU_DEP_1) | instskip(NEXT) | instid1(TRANS32_DEP_1)
	v_rcp_iflag_f32_e32 v1, v1
	v_mul_f32_e32 v1, 0x4f7ffffe, v1
	s_delay_alu instid0(VALU_DEP_1) | instskip(NEXT) | instid1(VALU_DEP_1)
	v_cvt_u32_f32_e32 v1, v1
	v_readfirstlane_b32 s6, v1
	s_wait_alu 0xfffe
	s_delay_alu instid0(VALU_DEP_1)
	s_mul_i32 s7, s7, s6
	s_wait_alu 0xfffe
	s_mul_hi_u32 s7, s6, s7
	s_wait_alu 0xfffe
	s_add_co_i32 s6, s6, s7
	s_wait_alu 0xfffe
	s_mul_hi_u32 s6, s18, s6
	s_wait_alu 0xfffe
	s_mul_i32 s7, s6, s20
	s_add_co_i32 s8, s6, 1
	s_wait_alu 0xfffe
	s_sub_co_i32 s7, s18, s7
	s_wait_alu 0xfffe
	s_sub_co_i32 s9, s7, s20
	s_cmp_ge_u32 s7, s20
	s_cselect_b32 s6, s8, s6
	s_wait_alu 0xfffe
	s_cselect_b32 s7, s9, s7
	s_add_co_i32 s8, s6, 1
	s_wait_alu 0xfffe
	s_cmp_ge_u32 s7, s20
	s_cselect_b32 s22, s8, s6
.LBB0_4:
	s_load_b64 s[8:9], s[2:3], 0x10
	s_load_b64 s[6:7], s[0:1], 0x20
	s_wait_kmcnt 0x0
	v_cmp_lt_u64_e64 s2, s[22:23], s[8:9]
	s_delay_alu instid0(VALU_DEP_1)
	s_and_b32 vcc_lo, exec_lo, s2
	s_mov_b64 s[2:3], s[22:23]
	s_cbranch_vccnz .LBB0_6
; %bb.5:
	v_cvt_f32_u32_e32 v1, s8
	s_sub_co_i32 s3, 0, s8
	s_delay_alu instid0(VALU_DEP_1) | instskip(NEXT) | instid1(TRANS32_DEP_1)
	v_rcp_iflag_f32_e32 v1, v1
	v_mul_f32_e32 v1, 0x4f7ffffe, v1
	s_delay_alu instid0(VALU_DEP_1) | instskip(NEXT) | instid1(VALU_DEP_1)
	v_cvt_u32_f32_e32 v1, v1
	v_readfirstlane_b32 s2, v1
	s_delay_alu instid0(VALU_DEP_1) | instskip(NEXT) | instid1(SALU_CYCLE_1)
	s_mul_i32 s3, s3, s2
	s_mul_hi_u32 s3, s2, s3
	s_delay_alu instid0(SALU_CYCLE_1) | instskip(NEXT) | instid1(SALU_CYCLE_1)
	s_add_co_i32 s2, s2, s3
	s_mul_hi_u32 s2, s22, s2
	s_delay_alu instid0(SALU_CYCLE_1) | instskip(NEXT) | instid1(SALU_CYCLE_1)
	s_mul_i32 s2, s2, s8
	s_sub_co_i32 s2, s22, s2
	s_delay_alu instid0(SALU_CYCLE_1)
	s_sub_co_i32 s3, s2, s8
	s_cmp_ge_u32 s2, s8
	s_cselect_b32 s2, s3, s2
	s_mov_b32 s3, 0
	s_sub_co_i32 s10, s2, s8
	s_cmp_ge_u32 s2, s8
	s_cselect_b32 s2, s10, s2
.LBB0_6:
	s_clause 0x1
	s_load_b128 s[12:15], s[4:5], 0x0
	s_load_b64 s[24:25], s[4:5], 0x10
	s_mul_u64 s[8:9], s[8:9], s[20:21]
	s_mov_b64 s[16:17], 0
	s_wait_alu 0xfffe
	v_cmp_lt_u64_e64 s9, s[18:19], s[8:9]
	s_delay_alu instid0(VALU_DEP_1)
	s_and_b32 vcc_lo, exec_lo, s9
	s_cbranch_vccnz .LBB0_8
; %bb.7:
	v_cvt_f32_u32_e32 v1, s8
	s_sub_co_i32 s10, 0, s8
	s_mov_b32 s17, 0
	s_delay_alu instid0(VALU_DEP_1) | instskip(NEXT) | instid1(TRANS32_DEP_1)
	v_rcp_iflag_f32_e32 v1, v1
	v_mul_f32_e32 v1, 0x4f7ffffe, v1
	s_delay_alu instid0(VALU_DEP_1) | instskip(NEXT) | instid1(VALU_DEP_1)
	v_cvt_u32_f32_e32 v1, v1
	v_readfirstlane_b32 s9, v1
	s_delay_alu instid0(VALU_DEP_1) | instskip(NEXT) | instid1(SALU_CYCLE_1)
	s_mul_i32 s10, s10, s9
	s_mul_hi_u32 s10, s9, s10
	s_delay_alu instid0(SALU_CYCLE_1)
	s_add_co_i32 s9, s9, s10
	s_wait_alu 0xfffe
	s_mul_hi_u32 s9, s18, s9
	s_wait_alu 0xfffe
	s_mul_i32 s10, s9, s8
	s_add_co_i32 s11, s9, 1
	s_sub_co_i32 s10, s18, s10
	s_delay_alu instid0(SALU_CYCLE_1)
	s_sub_co_i32 s16, s10, s8
	s_cmp_ge_u32 s10, s8
	s_cselect_b32 s9, s11, s9
	s_cselect_b32 s10, s16, s10
	s_wait_alu 0xfffe
	s_add_co_i32 s11, s9, 1
	s_cmp_ge_u32 s10, s8
	s_cselect_b32 s16, s11, s9
.LBB0_8:
	v_mul_u32_u24_e32 v1, 0x1556, v0
	s_load_b64 s[26:27], s[4:5], 0x18
	s_mul_u64 s[20:21], s[22:23], s[20:21]
	s_load_b256 s[4:11], s[6:7], 0x0
	s_sub_nc_u64 s[18:19], s[18:19], s[20:21]
	v_lshrrev_b32_e32 v43, 16, v1
	s_clause 0x1
	s_load_b64 s[20:21], s[0:1], 0x0
	s_load_b64 s[22:23], s[0:1], 0x58
	s_mul_u64 s[18:19], s[18:19], 12
	s_wait_kmcnt 0x0
	s_mul_u64 s[24:25], s[24:25], s[2:3]
	s_wait_alu 0xfffe
	s_mul_u64 s[30:31], s[14:15], s[18:19]
	v_mul_lo_u16 v1, v43, 12
	s_add_nc_u64 s[34:35], s[18:19], 12
	s_add_nc_u64 s[24:25], s[24:25], s[30:31]
	v_cmp_gt_u64_e64 s30, s[34:35], s[28:29]
	v_cmp_le_u64_e64 s33, s[34:35], s[28:29]
	v_sub_nc_u16 v1, v0, v1
	s_delay_alu instid0(VALU_DEP_3) | instskip(NEXT) | instid1(VALU_DEP_1)
	s_and_b32 vcc_lo, exec_lo, s30
	v_and_b32_e32 v80, 0xffff, v1
	s_mul_u64 s[26:27], s[26:27], s[16:17]
	s_delay_alu instid0(SALU_CYCLE_1) | instskip(NEXT) | instid1(VALU_DEP_1)
	s_add_nc_u64 s[24:25], s[26:27], s[24:25]
	v_add_co_u32 v41, s31, s18, v80
	s_delay_alu instid0(VALU_DEP_1)
	v_add_co_ci_u32_e64 v42, null, s19, 0, s31
	s_cbranch_vccz .LBB0_14
; %bb.9:
	s_mov_b32 s26, exec_lo
                                        ; implicit-def: $vgpr81
                                        ; implicit-def: $vgpr44
                                        ; implicit-def: $vgpr45
                                        ; implicit-def: $vgpr46
	s_delay_alu instid0(VALU_DEP_1)
	v_cmpx_le_u64_e64 s[28:29], v[41:42]
	s_xor_b32 s26, exec_lo, s26
; %bb.10:
	v_add_nc_u32_e32 v81, 10, v43
	v_add_nc_u32_e32 v44, 20, v43
	;; [unrolled: 1-line block ×4, first 2 shown]
; %bb.11:
	s_or_saveexec_b32 s26, s26
                                        ; implicit-def: $vgpr1_vgpr2
                                        ; implicit-def: $vgpr5_vgpr6
                                        ; implicit-def: $vgpr17_vgpr18
                                        ; implicit-def: $vgpr21_vgpr22
                                        ; implicit-def: $vgpr33_vgpr34
                                        ; implicit-def: $vgpr37_vgpr38
                                        ; implicit-def: $vgpr25_vgpr26
                                        ; implicit-def: $vgpr29_vgpr30
                                        ; implicit-def: $vgpr9_vgpr10
                                        ; implicit-def: $vgpr13_vgpr14
	s_delay_alu instid0(SALU_CYCLE_1)
	s_xor_b32 exec_lo, exec_lo, s26
	s_cbranch_execz .LBB0_13
; %bb.12:
	v_mad_co_u64_u32 v[1:2], null, s14, v80, 0
	v_mad_co_u64_u32 v[3:4], null, s12, v43, 0
	s_lshl_b64 s[30:31], s[24:25], 4
	v_add_nc_u32_e32 v30, 60, v43
	s_wait_alu 0xfffe
	s_add_nc_u64 s[30:31], s[22:23], s[30:31]
	v_add_nc_u32_e32 v19, 50, v43
	v_add_nc_u32_e32 v34, 0x5a, v43
	s_delay_alu instid0(VALU_DEP_4)
	v_mad_co_u64_u32 v[5:6], null, s15, v80, v[2:3]
	v_add_nc_u32_e32 v81, 10, v43
	v_mad_co_u64_u32 v[25:26], null, s12, v30, 0
	v_add_nc_u32_e32 v46, 40, v43
	v_mad_co_u64_u32 v[15:16], null, s12, v19, 0
	v_mov_b32_e32 v2, v5
	v_mad_co_u64_u32 v[6:7], null, s12, v81, 0
	v_add_nc_u32_e32 v44, 20, v43
	v_mad_co_u64_u32 v[8:9], null, s13, v43, v[4:5]
	v_add_nc_u32_e32 v45, 30, v43
	v_lshlrev_b64_e32 v[1:2], 4, v[1:2]
	v_mov_b32_e32 v5, v7
	v_mad_co_u64_u32 v[9:10], null, s12, v44, 0
	v_mov_b32_e32 v4, v8
	v_mad_co_u64_u32 v[11:12], null, s12, v45, 0
	s_wait_alu 0xfffe
	v_add_co_u32 v32, vcc_lo, s30, v1
	s_delay_alu instid0(VALU_DEP_3) | instskip(SKIP_3) | instid1(VALU_DEP_3)
	v_lshlrev_b64_e32 v[3:4], 4, v[3:4]
	v_mov_b32_e32 v7, v10
	v_mad_co_u64_u32 v[13:14], null, s13, v81, v[5:6]
	v_add_co_ci_u32_e32 v33, vcc_lo, s31, v2, vcc_lo
	v_mad_co_u64_u32 v[1:2], null, s13, v44, v[7:8]
	v_mov_b32_e32 v2, v12
	v_add_co_u32 v3, vcc_lo, v32, v3
	v_mov_b32_e32 v7, v13
	s_wait_alu 0xfffd
	v_add_co_ci_u32_e32 v4, vcc_lo, v33, v4, vcc_lo
	v_mov_b32_e32 v10, v1
	v_mad_co_u64_u32 v[12:13], null, s13, v45, v[2:3]
	v_mad_co_u64_u32 v[13:14], null, s12, v46, 0
	v_lshlrev_b64_e32 v[5:6], 4, v[6:7]
	s_delay_alu instid0(VALU_DEP_4) | instskip(NEXT) | instid1(VALU_DEP_4)
	v_lshlrev_b64_e32 v[9:10], 4, v[9:10]
	v_lshlrev_b64_e32 v[11:12], 4, v[11:12]
	s_delay_alu instid0(VALU_DEP_4) | instskip(NEXT) | instid1(VALU_DEP_4)
	v_mad_co_u64_u32 v[17:18], null, s13, v46, v[14:15]
	v_add_co_u32 v5, vcc_lo, v32, v5
	v_mov_b32_e32 v14, v16
	s_wait_alu 0xfffd
	v_add_co_ci_u32_e32 v6, vcc_lo, v33, v6, vcc_lo
	v_add_co_u32 v9, vcc_lo, v32, v9
	s_wait_alu 0xfffd
	v_add_co_ci_u32_e32 v10, vcc_lo, v33, v10, vcc_lo
	v_add_co_u32 v11, vcc_lo, v32, v11
	v_add_nc_u32_e32 v31, 0x46, v43
	v_mad_co_u64_u32 v[27:28], null, s13, v19, v[14:15]
	v_mov_b32_e32 v14, v17
	s_wait_alu 0xfffd
	v_add_co_ci_u32_e32 v12, vcc_lo, v33, v12, vcc_lo
	v_mad_co_u64_u32 v[28:29], null, s12, v31, 0
	s_clause 0x3
	global_load_b128 v[1:4], v[3:4], off
	global_load_b128 v[5:8], v[5:6], off
	;; [unrolled: 1-line block ×4, first 2 shown]
	v_lshlrev_b64_e32 v[10:11], 4, v[13:14]
	v_dual_mov_b32 v9, v26 :: v_dual_mov_b32 v16, v27
	v_or_b32_e32 v27, 0x50, v43
	s_delay_alu instid0(VALU_DEP_2) | instskip(SKIP_1) | instid1(VALU_DEP_3)
	v_mad_co_u64_u32 v[12:13], null, s13, v30, v[9:10]
	v_mov_b32_e32 v9, v29
	v_mad_co_u64_u32 v[13:14], null, s12, v27, 0
	s_delay_alu instid0(VALU_DEP_2)
	v_mad_co_u64_u32 v[29:30], null, s13, v31, v[9:10]
	v_mad_co_u64_u32 v[30:31], null, s12, v34, 0
	v_add_co_u32 v9, vcc_lo, v32, v10
	s_wait_alu 0xfffd
	v_add_co_ci_u32_e32 v10, vcc_lo, v33, v11, vcc_lo
	v_mov_b32_e32 v11, v14
	v_lshlrev_b64_e32 v[14:15], 4, v[15:16]
	v_mov_b32_e32 v26, v12
	s_delay_alu instid0(VALU_DEP_3) | instskip(SKIP_1) | instid1(VALU_DEP_4)
	v_mad_co_u64_u32 v[11:12], null, s13, v27, v[11:12]
	v_mov_b32_e32 v12, v31
	v_add_co_u32 v37, vcc_lo, v32, v14
	s_wait_alu 0xfffd
	v_add_co_ci_u32_e32 v38, vcc_lo, v33, v15, vcc_lo
	v_lshlrev_b64_e32 v[15:16], 4, v[25:26]
	v_mad_co_u64_u32 v[25:26], null, s13, v34, v[12:13]
	v_mov_b32_e32 v14, v11
	v_lshlrev_b64_e32 v[26:27], 4, v[28:29]
	s_delay_alu instid0(VALU_DEP_4) | instskip(NEXT) | instid1(VALU_DEP_3)
	v_add_co_u32 v11, vcc_lo, v32, v15
	v_lshlrev_b64_e32 v[13:14], 4, v[13:14]
	v_mov_b32_e32 v31, v25
	s_wait_alu 0xfffd
	v_add_co_ci_u32_e32 v12, vcc_lo, v33, v16, vcc_lo
	v_add_co_u32 v15, vcc_lo, v32, v26
	s_delay_alu instid0(VALU_DEP_3)
	v_lshlrev_b64_e32 v[25:26], 4, v[30:31]
	s_wait_alu 0xfffd
	v_add_co_ci_u32_e32 v16, vcc_lo, v33, v27, vcc_lo
	v_add_co_u32 v13, vcc_lo, v32, v13
	s_wait_alu 0xfffd
	v_add_co_ci_u32_e32 v14, vcc_lo, v33, v14, vcc_lo
	v_add_co_u32 v47, vcc_lo, v32, v25
	s_wait_alu 0xfffd
	v_add_co_ci_u32_e32 v48, vcc_lo, v33, v26, vcc_lo
	s_clause 0x5
	global_load_b128 v[33:36], v[9:10], off
	global_load_b128 v[37:40], v[37:38], off
	;; [unrolled: 1-line block ×6, first 2 shown]
.LBB0_13:
	s_or_b32 exec_lo, exec_lo, s26
	s_cbranch_execz .LBB0_15
	s_branch .LBB0_16
.LBB0_14:
                                        ; implicit-def: $vgpr1_vgpr2
                                        ; implicit-def: $vgpr5_vgpr6
                                        ; implicit-def: $vgpr17_vgpr18
                                        ; implicit-def: $vgpr21_vgpr22
                                        ; implicit-def: $vgpr33_vgpr34
                                        ; implicit-def: $vgpr37_vgpr38
                                        ; implicit-def: $vgpr25_vgpr26
                                        ; implicit-def: $vgpr29_vgpr30
                                        ; implicit-def: $vgpr9_vgpr10
                                        ; implicit-def: $vgpr13_vgpr14
                                        ; implicit-def: $vgpr81
                                        ; implicit-def: $vgpr44
                                        ; implicit-def: $vgpr45
                                        ; implicit-def: $vgpr46
.LBB0_15:
	s_wait_loadcnt 0x9
	v_mad_co_u64_u32 v[1:2], null, s14, v80, 0
	v_mad_co_u64_u32 v[3:4], null, s12, v43, 0
	s_lshl_b64 s[24:25], s[24:25], 4
	s_wait_loadcnt 0x2
	v_add_nc_u32_e32 v30, 60, v43
	v_add_nc_u32_e32 v19, 50, v43
	;; [unrolled: 1-line block ×3, first 2 shown]
	s_delay_alu instid0(VALU_DEP_4)
	v_mad_co_u64_u32 v[5:6], null, s15, v80, v[2:3]
	v_add_nc_u32_e32 v81, 10, v43
	s_add_nc_u64 s[14:15], s[22:23], s[24:25]
	v_mad_co_u64_u32 v[25:26], null, s12, v30, 0
	v_add_nc_u32_e32 v46, 40, v43
	s_wait_loadcnt 0x0
	v_mad_co_u64_u32 v[15:16], null, s12, v19, 0
	v_mov_b32_e32 v2, v5
	v_mad_co_u64_u32 v[6:7], null, s12, v81, 0
	v_add_nc_u32_e32 v44, 20, v43
	v_mad_co_u64_u32 v[8:9], null, s13, v43, v[4:5]
	v_add_nc_u32_e32 v45, 30, v43
	v_lshlrev_b64_e32 v[1:2], 4, v[1:2]
	v_mov_b32_e32 v5, v7
	v_mad_co_u64_u32 v[9:10], null, s12, v44, 0
	v_mov_b32_e32 v4, v8
	v_mad_co_u64_u32 v[11:12], null, s12, v45, 0
	s_wait_alu 0xfffe
	v_add_co_u32 v32, vcc_lo, s14, v1
	s_delay_alu instid0(VALU_DEP_3) | instskip(SKIP_4) | instid1(VALU_DEP_3)
	v_lshlrev_b64_e32 v[3:4], 4, v[3:4]
	v_mov_b32_e32 v7, v10
	v_mad_co_u64_u32 v[13:14], null, s13, v81, v[5:6]
	s_wait_alu 0xfffd
	v_add_co_ci_u32_e32 v33, vcc_lo, s15, v2, vcc_lo
	v_mad_co_u64_u32 v[1:2], null, s13, v44, v[7:8]
	v_mov_b32_e32 v2, v12
	v_add_co_u32 v3, vcc_lo, v32, v3
	v_mov_b32_e32 v7, v13
	s_wait_alu 0xfffd
	v_add_co_ci_u32_e32 v4, vcc_lo, v33, v4, vcc_lo
	v_mov_b32_e32 v10, v1
	v_mad_co_u64_u32 v[12:13], null, s13, v45, v[2:3]
	v_mad_co_u64_u32 v[13:14], null, s12, v46, 0
	v_lshlrev_b64_e32 v[5:6], 4, v[6:7]
	s_delay_alu instid0(VALU_DEP_4) | instskip(NEXT) | instid1(VALU_DEP_4)
	v_lshlrev_b64_e32 v[9:10], 4, v[9:10]
	v_lshlrev_b64_e32 v[11:12], 4, v[11:12]
	s_delay_alu instid0(VALU_DEP_4) | instskip(NEXT) | instid1(VALU_DEP_4)
	v_mad_co_u64_u32 v[17:18], null, s13, v46, v[14:15]
	v_add_co_u32 v5, vcc_lo, v32, v5
	v_mov_b32_e32 v14, v16
	s_wait_alu 0xfffd
	v_add_co_ci_u32_e32 v6, vcc_lo, v33, v6, vcc_lo
	v_add_co_u32 v9, vcc_lo, v32, v9
	s_wait_alu 0xfffd
	v_add_co_ci_u32_e32 v10, vcc_lo, v33, v10, vcc_lo
	v_add_co_u32 v11, vcc_lo, v32, v11
	v_add_nc_u32_e32 v31, 0x46, v43
	v_mad_co_u64_u32 v[27:28], null, s13, v19, v[14:15]
	v_mov_b32_e32 v14, v17
	s_wait_alu 0xfffd
	v_add_co_ci_u32_e32 v12, vcc_lo, v33, v12, vcc_lo
	v_mad_co_u64_u32 v[28:29], null, s12, v31, 0
	s_clause 0x3
	global_load_b128 v[1:4], v[3:4], off
	global_load_b128 v[5:8], v[5:6], off
	;; [unrolled: 1-line block ×4, first 2 shown]
	v_lshlrev_b64_e32 v[10:11], 4, v[13:14]
	v_dual_mov_b32 v9, v26 :: v_dual_mov_b32 v16, v27
	v_or_b32_e32 v27, 0x50, v43
	s_delay_alu instid0(VALU_DEP_2) | instskip(SKIP_1) | instid1(VALU_DEP_3)
	v_mad_co_u64_u32 v[12:13], null, s13, v30, v[9:10]
	v_mov_b32_e32 v9, v29
	v_mad_co_u64_u32 v[13:14], null, s12, v27, 0
	s_delay_alu instid0(VALU_DEP_2)
	v_mad_co_u64_u32 v[29:30], null, s13, v31, v[9:10]
	v_mad_co_u64_u32 v[30:31], null, s12, v34, 0
	v_add_co_u32 v9, vcc_lo, v32, v10
	s_wait_alu 0xfffd
	v_add_co_ci_u32_e32 v10, vcc_lo, v33, v11, vcc_lo
	v_mov_b32_e32 v11, v14
	v_lshlrev_b64_e32 v[14:15], 4, v[15:16]
	v_mov_b32_e32 v26, v12
	s_delay_alu instid0(VALU_DEP_3) | instskip(SKIP_1) | instid1(VALU_DEP_4)
	v_mad_co_u64_u32 v[11:12], null, s13, v27, v[11:12]
	v_mov_b32_e32 v12, v31
	v_add_co_u32 v37, vcc_lo, v32, v14
	s_wait_alu 0xfffd
	v_add_co_ci_u32_e32 v38, vcc_lo, v33, v15, vcc_lo
	v_lshlrev_b64_e32 v[15:16], 4, v[25:26]
	v_mad_co_u64_u32 v[25:26], null, s13, v34, v[12:13]
	v_mov_b32_e32 v14, v11
	v_lshlrev_b64_e32 v[26:27], 4, v[28:29]
	s_delay_alu instid0(VALU_DEP_4) | instskip(NEXT) | instid1(VALU_DEP_3)
	v_add_co_u32 v11, vcc_lo, v32, v15
	v_lshlrev_b64_e32 v[13:14], 4, v[13:14]
	v_mov_b32_e32 v31, v25
	s_wait_alu 0xfffd
	v_add_co_ci_u32_e32 v12, vcc_lo, v33, v16, vcc_lo
	v_add_co_u32 v15, vcc_lo, v32, v26
	s_delay_alu instid0(VALU_DEP_3)
	v_lshlrev_b64_e32 v[25:26], 4, v[30:31]
	s_wait_alu 0xfffd
	v_add_co_ci_u32_e32 v16, vcc_lo, v33, v27, vcc_lo
	v_add_co_u32 v13, vcc_lo, v32, v13
	s_wait_alu 0xfffd
	v_add_co_ci_u32_e32 v14, vcc_lo, v33, v14, vcc_lo
	v_add_co_u32 v47, vcc_lo, v32, v25
	s_wait_alu 0xfffd
	v_add_co_ci_u32_e32 v48, vcc_lo, v33, v26, vcc_lo
	s_clause 0x5
	global_load_b128 v[33:36], v[9:10], off
	global_load_b128 v[37:40], v[37:38], off
	;; [unrolled: 1-line block ×6, first 2 shown]
.LBB0_16:
	s_wait_loadcnt 0x2
	v_add_f64_e32 v[47:48], v[29:30], v[37:38]
	s_wait_loadcnt 0x0
	v_add_f64_e32 v[49:50], v[13:14], v[21:22]
	v_add_f64_e32 v[51:52], v[15:16], v[23:24]
	;; [unrolled: 1-line block ×3, first 2 shown]
	v_add_f64_e64 v[55:56], v[23:24], -v[15:16]
	v_add_f64_e64 v[57:58], v[39:40], -v[31:32]
	;; [unrolled: 1-line block ×4, first 2 shown]
	s_mov_b32 s12, 0x134454ff
	s_mov_b32 s13, 0x3fee6f0e
	;; [unrolled: 1-line block ×3, first 2 shown]
	s_wait_alu 0xfffe
	s_mov_b32 s14, s12
	v_add_f64_e32 v[63:64], v[25:26], v[33:34]
	v_add_f64_e32 v[65:66], v[9:10], v[17:18]
	v_add_f64_e64 v[67:68], v[21:22], -v[37:38]
	v_add_f64_e64 v[69:70], v[13:14], -v[29:30]
	;; [unrolled: 1-line block ×4, first 2 shown]
	v_add_f64_e32 v[84:85], v[27:28], v[35:36]
	v_add_f64_e32 v[86:87], v[11:12], v[19:20]
	v_add_f64_e64 v[90:91], v[39:40], -v[23:24]
	v_add_f64_e64 v[94:95], v[31:32], -v[15:16]
	v_add_f64_e64 v[88:89], v[23:24], -v[39:40]
	v_add_f64_e64 v[92:93], v[15:16], -v[31:32]
	s_mov_b32 s22, 0x4755a5e
	s_mov_b32 s23, 0x3fe2cf23
	v_add_f64_e32 v[82:83], v[17:18], v[1:2]
	v_add_f64_e64 v[100:101], v[19:20], -v[11:12]
	v_add_f64_e64 v[102:103], v[35:36], -v[27:28]
	s_mov_b32 s25, 0xbfe2cf23
	s_wait_alu 0xfffe
	s_mov_b32 s24, s22
	s_mov_b32 s26, 0x372fe950
	;; [unrolled: 1-line block ×5, first 2 shown]
	v_and_b32_e32 v0, 0xffff, v0
	v_cmp_gt_u64_e32 vcc_lo, s[28:29], v[41:42]
	v_fma_f64 v[47:48], v[47:48], -0.5, v[5:6]
	v_fma_f64 v[49:50], v[49:50], -0.5, v[5:6]
	;; [unrolled: 1-line block ×4, first 2 shown]
	v_add_f64_e32 v[5:6], v[21:22], v[5:6]
	v_add_f64_e32 v[7:8], v[23:24], v[7:8]
	v_mul_u32_u24_e32 v0, 0x223, v0
	s_or_b32 s28, s33, vcc_lo
	s_delay_alu instid0(VALU_DEP_1) | instskip(SKIP_3) | instid1(VALU_DEP_4)
	v_lshrrev_b32_e32 v0, 16, v0
	v_fma_f64 v[21:22], v[63:64], -0.5, v[1:2]
	v_fma_f64 v[1:2], v[65:66], -0.5, v[1:2]
	v_add_f64_e32 v[63:64], v[69:70], v[67:68]
	v_mul_lo_u16 v0, v0, 20
	v_add_f64_e32 v[65:66], v[73:74], v[71:72]
	v_fma_f64 v[23:24], v[84:85], -0.5, v[3:4]
	v_add_f64_e64 v[71:72], v[33:34], -v[25:26]
	v_add_f64_e64 v[73:74], v[17:18], -v[33:34]
	v_and_b32_e32 v0, 0xffff, v0
	v_fma_f64 v[75:76], v[55:56], s[12:13], v[47:48]
	v_fma_f64 v[77:78], v[57:58], s[14:15], v[49:50]
	v_fma_f64 v[49:50], v[57:58], s[12:13], v[49:50]
	v_fma_f64 v[47:48], v[55:56], s[14:15], v[47:48]
	v_fma_f64 v[96:97], v[61:62], s[14:15], v[51:52]
	v_fma_f64 v[98:99], v[59:60], s[12:13], v[53:54]
	v_fma_f64 v[53:54], v[59:60], s[14:15], v[53:54]
	v_fma_f64 v[51:52], v[61:62], s[12:13], v[51:52]
	v_add_f64_e32 v[5:6], v[37:38], v[5:6]
	v_add_f64_e32 v[7:8], v[39:40], v[7:8]
	v_fma_f64 v[37:38], v[100:101], s[12:13], v[21:22]
	v_fma_f64 v[21:22], v[100:101], s[14:15], v[21:22]
	;; [unrolled: 1-line block ×6, first 2 shown]
	v_add_f64_e32 v[55:56], v[19:20], v[3:4]
	v_add_f64_e64 v[57:58], v[17:18], -v[9:10]
	v_fma_f64 v[3:4], v[86:87], -0.5, v[3:4]
	v_add_f64_e32 v[77:78], v[94:95], v[90:91]
	v_fma_f64 v[84:85], v[59:60], s[22:23], v[96:97]
	v_add_f64_e32 v[75:76], v[92:93], v[88:89]
	v_fma_f64 v[86:87], v[61:62], s[22:23], v[98:99]
	v_add_f64_e64 v[17:18], v[33:34], -v[17:18]
	v_add_f64_e64 v[88:89], v[9:10], -v[25:26]
	v_add_f64_e64 v[90:91], v[25:26], -v[9:10]
	v_add_f64_e32 v[33:34], v[33:34], v[82:83]
	v_fma_f64 v[82:83], v[102:103], s[14:15], v[1:2]
	v_fma_f64 v[1:2], v[102:103], s[12:13], v[1:2]
	;; [unrolled: 1-line block ×4, first 2 shown]
	v_add_f64_e32 v[5:6], v[29:30], v[5:6]
	v_fma_f64 v[29:30], v[102:103], s[22:23], v[37:38]
	v_add_f64_e32 v[7:8], v[31:32], v[7:8]
	v_fma_f64 v[21:22], v[102:103], s[24:25], v[21:22]
	v_fma_f64 v[59:60], v[63:64], s[26:27], v[67:68]
	;; [unrolled: 1-line block ×5, first 2 shown]
	v_add_f64_e64 v[63:64], v[19:20], -v[35:36]
	v_add_f64_e64 v[19:20], v[35:36], -v[19:20]
	;; [unrolled: 1-line block ×4, first 2 shown]
	v_add_f64_e32 v[35:36], v[35:36], v[55:56]
	v_fma_f64 v[39:40], v[57:58], s[14:15], v[23:24]
	v_fma_f64 v[55:56], v[71:72], s[12:13], v[3:4]
	;; [unrolled: 1-line block ×6, first 2 shown]
	v_add_f64_e32 v[73:74], v[88:89], v[73:74]
	v_add_f64_e32 v[17:18], v[90:91], v[17:18]
	;; [unrolled: 1-line block ×3, first 2 shown]
	v_fma_f64 v[33:34], v[100:101], s[22:23], v[82:83]
	v_fma_f64 v[1:2], v[100:101], s[24:25], v[1:2]
	;; [unrolled: 1-line block ×4, first 2 shown]
	v_add_f64_e32 v[5:6], v[13:14], v[5:6]
	v_add_f64_e32 v[7:8], v[15:16], v[7:8]
	s_wait_alu 0xfffe
	v_mul_f64_e32 v[53:54], s[30:31], v[59:60]
	v_mul_f64_e32 v[75:76], s[26:27], v[61:62]
	;; [unrolled: 1-line block ×4, first 2 shown]
	v_add_f64_e32 v[63:64], v[65:66], v[63:64]
	v_add_f64_e32 v[19:20], v[67:68], v[19:20]
	;; [unrolled: 1-line block ×3, first 2 shown]
	v_fma_f64 v[31:32], v[71:72], s[24:25], v[39:40]
	v_fma_f64 v[35:36], v[57:58], s[24:25], v[55:56]
	;; [unrolled: 1-line block ×3, first 2 shown]
	v_mul_f64_e32 v[39:40], s[24:25], v[59:60]
	v_mul_f64_e32 v[55:56], s[14:15], v[61:62]
	;; [unrolled: 1-line block ×3, first 2 shown]
	v_fma_f64 v[23:24], v[71:72], s[22:23], v[23:24]
	v_mul_f64_e32 v[59:60], s[30:31], v[84:85]
	v_add_f64_e32 v[9:10], v[9:10], v[25:26]
	v_fma_f64 v[13:14], v[73:74], s[26:27], v[29:30]
	v_fma_f64 v[25:26], v[17:18], s[26:27], v[33:34]
	;; [unrolled: 1-line block ×4, first 2 shown]
	v_mul_lo_u16 v68, v43, 26
	v_and_b32_e32 v72, 0xff, v45
	v_and_b32_e32 v73, 0xff, v46
	v_lshlrev_b32_e32 v71, 3, v80
	v_mul_i32_i24_e32 v65, 0x60, v44
	v_mul_u32_u24_e32 v61, 0x3c0, v43
	v_mul_i32_i24_e32 v62, 0x60, v81
	v_mul_i32_i24_e32 v66, 0x60, v45
	v_mul_i32_i24_e32 v67, 0x60, v46
	v_add3_u32 v74, 0, v65, v71
	v_add3_u32 v61, 0, v61, v71
	v_fma_f64 v[17:18], v[37:38], s[22:23], v[53:54]
	v_fma_f64 v[29:30], v[51:52], s[12:13], v[75:76]
	v_fma_f64 v[33:34], v[69:70], s[12:13], -v[77:78]
	v_fma_f64 v[53:54], v[84:85], s[22:23], -v[82:83]
	v_and_b32_e32 v69, 0xff, v81
	v_and_b32_e32 v70, 0xff, v44
	v_mad_i32_i24 v82, 0xfffffca0, v43, v61
	v_add3_u32 v83, 0, v62, v71
	v_add_f64_e32 v[27:28], v[11:12], v[27:28]
	v_fma_f64 v[15:16], v[63:64], s[26:27], v[31:32]
	v_fma_f64 v[31:32], v[19:20], s[26:27], v[35:36]
	;; [unrolled: 1-line block ×5, first 2 shown]
	v_fma_f64 v[37:38], v[49:50], s[14:15], -v[57:58]
	v_fma_f64 v[23:24], v[63:64], s[26:27], v[23:24]
	v_fma_f64 v[39:40], v[47:48], s[24:25], -v[59:60]
	v_mul_lo_u16 v12, 0xcd, v69
	v_mul_lo_u16 v48, 0xcd, v70
	v_lshrrev_b16 v47, 8, v68
	v_mul_lo_u16 v57, 0xcd, v72
	v_mul_lo_u16 v58, 0xcd, v73
	v_lshrrev_b16 v72, 11, v12
	v_lshrrev_b16 v73, 11, v48
	v_mul_lo_u16 v59, v47, 10
	v_add_f64_e32 v[47:48], v[5:6], v[9:10]
	v_add_f64_e64 v[5:6], v[9:10], -v[5:6]
	v_lshrrev_b16 v76, 11, v57
	v_lshrrev_b16 v77, 11, v58
	v_sub_nc_u16 v59, v43, v59
	v_add_nc_u32_e32 v60, 0x1000, v82
	v_add_nc_u32_e32 v62, 0x1800, v82
	v_mul_lo_u16 v63, v76, 10
	v_mul_lo_u16 v64, v77, 10
	v_and_b32_e32 v78, 0xff, v59
	v_add3_u32 v11, 0, v66, v71
	v_add3_u32 v75, 0, v67, v71
	v_add_f64_e32 v[9:10], v[13:14], v[17:18]
	v_add_f64_e32 v[49:50], v[25:26], v[29:30]
	v_add_f64_e64 v[13:14], v[13:14], -v[17:18]
	v_add_f64_e64 v[17:18], v[25:26], -v[29:30]
	v_mul_lo_u16 v25, v72, 10
	v_mul_lo_u16 v26, v73, 10
	v_add_f64_e32 v[51:52], v[1:2], v[33:34]
	v_add_f64_e32 v[55:56], v[21:22], v[53:54]
	v_add_f64_e64 v[1:2], v[1:2], -v[33:34]
	v_sub_nc_u16 v65, v81, v25
	v_sub_nc_u16 v44, v44, v26
	v_add_f64_e32 v[25:26], v[7:8], v[27:28]
	v_add_f64_e32 v[29:30], v[15:16], v[19:20]
	v_add_f64_e64 v[21:22], v[21:22], -v[53:54]
	v_add_f64_e32 v[33:34], v[31:32], v[35:36]
	v_add_f64_e32 v[53:54], v[3:4], v[37:38]
	v_add_f64_e64 v[27:28], v[27:28], -v[7:8]
	v_add_f64_e32 v[57:58], v[23:24], v[39:40]
	v_add_f64_e64 v[15:16], v[15:16], -v[19:20]
	v_add_f64_e64 v[19:20], v[31:32], -v[35:36]
	;; [unrolled: 1-line block ×4, first 2 shown]
	v_sub_nc_u16 v3, v45, v63
	v_sub_nc_u16 v4, v46, v64
	v_and_b32_e32 v79, 0xff, v65
	v_and_b32_e32 v84, 0xff, v44
	v_lshlrev_b32_e32 v35, 4, v78
	v_and_b32_e32 v85, 0xff, v3
	v_and_b32_e32 v86, 0xff, v4
	v_lshlrev_b32_e32 v36, 4, v79
	v_lshlrev_b32_e32 v37, 4, v84
	v_add_nc_u32_e32 v0, v0, v78
	v_lshlrev_b32_e32 v38, 4, v85
	v_lshlrev_b32_e32 v39, 4, v86
	ds_store_2addr_b64 v61, v[47:48], v[9:10] offset1:12
	ds_store_2addr_b64 v61, v[49:50], v[51:52] offset0:24 offset1:36
	ds_store_2addr_b64 v61, v[55:56], v[5:6] offset0:48 offset1:60
	;; [unrolled: 1-line block ×4, first 2 shown]
	global_wb scope:SCOPE_SE
	s_wait_dscnt 0x0
	s_barrier_signal -1
	s_barrier_wait -1
	global_inv scope:SCOPE_SE
	ds_load_b64 v[9:10], v82
	ds_load_2addr_b64 v[1:4], v60 offset0:88 offset1:208
	ds_load_2addr_b64 v[5:8], v62 offset0:72 offset1:192
	ds_load_b64 v[44:45], v11
	ds_load_b64 v[46:47], v75
	;; [unrolled: 1-line block ×4, first 2 shown]
	ds_load_b64 v[55:56], v82 offset:8640
	global_wb scope:SCOPE_SE
	s_wait_dscnt 0x0
	s_barrier_signal -1
	s_barrier_wait -1
	global_inv scope:SCOPE_SE
	ds_store_2addr_b64 v61, v[25:26], v[29:30] offset1:12
	ds_store_2addr_b64 v61, v[33:34], v[53:54] offset0:24 offset1:36
	ds_store_2addr_b64 v61, v[57:58], v[27:28] offset0:48 offset1:60
	;; [unrolled: 1-line block ×4, first 2 shown]
	global_wb scope:SCOPE_SE
	s_wait_dscnt 0x0
	s_barrier_signal -1
	s_barrier_wait -1
	global_inv scope:SCOPE_SE
	s_clause 0x4
	global_load_b128 v[13:16], v35, s[20:21]
	global_load_b128 v[17:20], v36, s[20:21]
	;; [unrolled: 1-line block ×5, first 2 shown]
	ds_load_2addr_b64 v[33:36], v60 offset0:88 offset1:208
	ds_load_2addr_b64 v[37:40], v62 offset0:72 offset1:192
	ds_load_b64 v[52:53], v82 offset:8640
	ds_load_b64 v[57:58], v83
	ds_load_b64 v[59:60], v82
	v_mul_u32_u24_e32 v0, 0x60, v0
	s_wait_loadcnt_dscnt 0x404
	v_mul_f64_e32 v[61:62], v[33:34], v[15:16]
	s_wait_loadcnt 0x3
	v_mul_f64_e32 v[63:64], v[35:36], v[19:20]
	s_wait_loadcnt_dscnt 0x203
	v_mul_f64_e32 v[65:66], v[37:38], v[23:24]
	s_wait_loadcnt 0x1
	v_mul_f64_e32 v[67:68], v[39:40], v[27:28]
	s_wait_loadcnt_dscnt 0x2
	v_mul_f64_e32 v[69:70], v[52:53], v[31:32]
	v_mul_f64_e32 v[15:16], v[1:2], v[15:16]
	;; [unrolled: 1-line block ×6, first 2 shown]
	v_fma_f64 v[1:2], v[1:2], v[13:14], -v[61:62]
	v_fma_f64 v[3:4], v[3:4], v[17:18], -v[63:64]
	v_fma_f64 v[5:6], v[5:6], v[21:22], -v[65:66]
	v_fma_f64 v[7:8], v[7:8], v[25:26], -v[67:68]
	v_fma_f64 v[54:55], v[55:56], v[29:30], -v[69:70]
	v_fma_f64 v[13:14], v[33:34], v[13:14], v[15:16]
	v_fma_f64 v[15:16], v[35:36], v[17:18], v[19:20]
	v_fma_f64 v[19:20], v[39:40], v[25:26], v[27:28]
	v_fma_f64 v[17:18], v[37:38], v[21:22], v[23:24]
	v_fma_f64 v[21:22], v[52:53], v[29:30], v[31:32]
	ds_load_b64 v[25:26], v74
	ds_load_b64 v[27:28], v11
	;; [unrolled: 1-line block ×3, first 2 shown]
	v_and_b32_e32 v11, 0xffff, v72
	v_and_b32_e32 v39, 0xffff, v73
	v_add3_u32 v61, 0, v0, v71
	v_add_nc_u32_e32 v40, 0x1400, v82
	global_wb scope:SCOPE_SE
	s_wait_dscnt 0x0
	v_mad_u32_u24 v11, v11, 20, v79
	v_mad_u32_u24 v39, v39, 20, v84
	s_barrier_signal -1
	s_barrier_wait -1
	global_inv scope:SCOPE_SE
	v_mul_u32_u24_e32 v0, 0x60, v11
	v_mul_u32_u24_e32 v11, 0x60, v39
	v_add_f64_e64 v[1:2], v[9:10], -v[1:2]
	v_add_f64_e64 v[3:4], v[50:51], -v[3:4]
	;; [unrolled: 1-line block ×10, first 2 shown]
	v_fma_f64 v[9:10], v[9:10], 2.0, -v[1:2]
	v_fma_f64 v[31:32], v[50:51], 2.0, -v[3:4]
	;; [unrolled: 1-line block ×5, first 2 shown]
	v_and_b32_e32 v45, 0xffff, v76
	v_and_b32_e32 v46, 0xffff, v77
	v_fma_f64 v[53:54], v[27:28], 2.0, -v[19:20]
	v_fma_f64 v[49:50], v[57:58], 2.0, -v[15:16]
	;; [unrolled: 1-line block ×3, first 2 shown]
	v_mad_u32_u24 v45, v45, 20, v85
	v_mad_u32_u24 v47, v46, 20, v86
	v_fma_f64 v[51:52], v[25:26], 2.0, -v[17:18]
	v_add_nc_u32_e32 v48, 0x1c00, v82
	v_add3_u32 v57, 0, v11, v71
	v_mul_u32_u24_e32 v39, 0x60, v45
	v_fma_f64 v[45:46], v[59:60], 2.0, -v[13:14]
	v_mul_u32_u24_e32 v25, 0x60, v47
	v_add3_u32 v47, 0, v0, v71
	v_add_nc_u32_e32 v44, 0xb00, v82
	v_add3_u32 v39, 0, v39, v71
	s_delay_alu instid0(VALU_DEP_4)
	v_add3_u32 v58, 0, v25, v71
	ds_store_2addr_b64 v61, v[9:10], v[1:2] offset1:120
	ds_store_2addr_b64 v47, v[31:32], v[3:4] offset1:120
	;; [unrolled: 1-line block ×5, first 2 shown]
	global_wb scope:SCOPE_SE
	s_wait_dscnt 0x0
	s_barrier_signal -1
	s_barrier_wait -1
	global_inv scope:SCOPE_SE
	ds_load_b64 v[26:27], v82
	ds_load_2addr_b64 v[8:11], v40 offset0:80 offset1:200
	ds_load_2addr_b64 v[0:3], v48 offset0:64 offset1:184
	ds_load_b64 v[30:31], v75
	ds_load_b64 v[28:29], v74
	;; [unrolled: 1-line block ×3, first 2 shown]
	ds_load_2addr_b64 v[4:7], v44 offset0:8 offset1:248
	global_wb scope:SCOPE_SE
	s_wait_dscnt 0x0
	s_barrier_signal -1
	s_barrier_wait -1
	global_inv scope:SCOPE_SE
	ds_store_2addr_b64 v61, v[45:46], v[13:14] offset1:120
	ds_store_2addr_b64 v47, v[49:50], v[15:16] offset1:120
	;; [unrolled: 1-line block ×5, first 2 shown]
	global_wb scope:SCOPE_SE
	s_wait_dscnt 0x0
	s_barrier_signal -1
	s_barrier_wait -1
	global_inv scope:SCOPE_SE
	s_and_saveexec_b32 s29, s28
	s_cbranch_execz .LBB0_18
; %bb.17:
	v_and_b32_e32 v84, 0xffff, v43
	v_lshrrev_b16 v85, 12, v12
	v_mul_lo_u32 v47, 0xffffffec, v41
	s_add_co_i32 s28, 0, 0x2580
	s_load_b64 s[0:1], s[0:1], 0x60
	v_mul_lo_u32 v12, v84, v41
	v_mul_lo_u16 v13, v85, 20
	v_or_b32_e32 v86, 0x50, v84
	v_lshlrev_b32_e32 v139, 6, v84
	v_and_b32_e32 v85, 0xffff, v85
	s_mul_u64 s[10:11], s[10:11], s[16:17]
	v_sub_nc_u16 v13, v81, v13
	v_mul_lo_u32 v14, v86, v41
	v_lshrrev_b32_e32 v15, 1, v12
	v_and_b32_e32 v16, 31, v12
	v_lshrrev_b32_e32 v12, 6, v12
	v_and_b32_e32 v65, 0xff, v13
	s_mul_u64 s[2:3], s[8:9], s[2:3]
	v_and_b32_e32 v13, 0x1f0, v15
	v_lshl_add_u32 v16, v16, 4, 0
	v_lshrrev_b32_e32 v15, 1, v14
	v_and_b32_e32 v17, 31, v14
	v_and_b32_e32 v21, 0x1f0, v12
	v_add_nc_u32_e32 v12, s28, v13
	v_add_nc_u32_e32 v20, v14, v47
	v_lshrrev_b32_e32 v22, 6, v14
	v_and_b32_e32 v23, 0x1f0, v15
	v_lshl_add_u32 v32, v17, 4, 0
	ds_load_b128 v[12:15], v12 offset:512
	ds_load_b128 v[16:19], v16 offset:9600
	v_mul_lo_u32 v70, v65, v41
	v_lshrrev_b32_e32 v33, 1, v20
	v_and_b32_e32 v36, 31, v20
	v_add_nc_u32_e32 v37, s28, v21
	v_add_nc_u32_e32 v34, s28, v23
	v_and_b32_e32 v38, 0x1f0, v22
	v_and_b32_e32 v42, 0x1f0, v33
	v_lshrrev_b32_e32 v39, 6, v20
	v_lshrrev_b32_e32 v43, 1, v70
	v_lshl_add_u32 v36, v36, 4, 0
	v_add_nc_u32_e32 v71, v20, v47
	ds_load_b128 v[20:23], v32 offset:9600
	ds_load_b128 v[49:52], v37 offset:1024
	v_and_b32_e32 v43, 0x1f0, v43
	ds_load_b128 v[32:35], v34 offset:512
	v_add_nc_u32_e32 v42, s28, v42
	v_and_b32_e32 v45, 31, v70
	v_add_nc_u32_e32 v46, s28, v38
	v_and_b32_e32 v57, 0x1f0, v39
	ds_load_b128 v[36:39], v36 offset:9600
	ds_load_b128 v[53:56], v42 offset:512
	v_add_nc_u32_e32 v61, s28, v43
	s_wait_dscnt 0x5
	v_mul_f64_e32 v[42:43], v[18:19], v[14:15]
	v_mul_f64_e32 v[14:15], v[16:17], v[14:15]
	v_lshl_add_u32 v45, v45, 4, 0
	v_add_nc_u32_e32 v72, s28, v57
	ds_load_b128 v[57:60], v45 offset:9600
	ds_load_b128 v[61:64], v61 offset:512
	;; [unrolled: 1-line block ×4, first 2 shown]
	v_add_nc_u32_e32 v72, 0x50, v65
	v_lshrrev_b32_e32 v70, 6, v70
	v_and_b32_e32 v73, 31, v71
	v_add_nc_u32_e32 v125, v71, v47
	v_lshrrev_b32_e32 v95, 6, v71
	v_mul_lo_u32 v41, v72, v41
	v_and_b32_e32 v70, 0x1f0, v70
	v_lshrrev_b32_e32 v72, 1, v71
	s_wait_dscnt 0x6
	v_mul_f64_e32 v[45:46], v[22:23], v[34:35]
	v_mul_f64_e32 v[34:35], v[20:21], v[34:35]
	s_wait_dscnt 0x4
	v_mul_f64_e32 v[107:108], v[38:39], v[55:56]
	v_add_nc_u32_e32 v70, s28, v70
	v_mul_f64_e32 v[55:56], v[36:37], v[55:56]
	v_and_b32_e32 v71, 0x1f0, v72
	v_lshrrev_b32_e32 v72, 1, v41
	v_lshl_add_u32 v76, v73, 4, 0
	ds_load_b128 v[91:94], v70 offset:1024
	v_and_b32_e32 v96, 31, v41
	v_add_nc_u32_e32 v70, s28, v71
	v_and_b32_e32 v98, 0x1f0, v72
	ds_load_b128 v[70:73], v70 offset:512
	ds_load_b128 v[76:79], v76 offset:9600
	v_lshrrev_b32_e32 v97, 6, v125
	v_lshl_add_u32 v96, v96, 4, 0
	v_add_nc_u32_e32 v100, s28, v98
	v_and_b32_e32 v99, 0x1f0, v95
	v_add_nc_u32_e32 v133, v41, v47
	v_and_b32_e32 v101, 0x1f0, v97
	ds_load_b128 v[95:98], v96 offset:9600
	v_fma_f64 v[113:114], v[16:17], v[12:13], -v[42:43]
	v_fma_f64 v[115:116], v[18:19], v[12:13], v[14:15]
	ds_load_b128 v[12:15], v100 offset:512
	v_add_nc_u32_e32 v17, s28, v99
	v_lshrrev_b32_e32 v18, 6, v133
	v_add_nc_u32_e32 v19, s28, v101
	v_lshrrev_b32_e32 v16, 6, v41
	v_lshrrev_b32_e32 v43, 1, v133
	ds_load_b128 v[99:102], v17 offset:1024
	s_wait_dscnt 0x8
	v_mul_f64_e32 v[111:112], v[59:60], v[63:64]
	ds_load_b128 v[103:106], v19 offset:1024
	v_and_b32_e32 v17, 0x1f0, v18
	s_wait_dscnt 0x4
	v_mul_f64_e32 v[18:19], v[78:79], v[72:73]
	v_mul_f64_e32 v[41:42], v[76:77], v[72:73]
	v_and_b32_e32 v16, 0x1f0, v16
	v_fma_f64 v[117:118], v[20:21], v[32:33], -v[45:46]
	v_fma_f64 v[119:120], v[22:23], v[32:33], v[34:35]
	v_lshrrev_b32_e32 v32, 1, v125
	v_fma_f64 v[72:73], v[36:37], v[53:54], -v[107:108]
	v_fma_f64 v[121:122], v[38:39], v[53:54], v[55:56]
	v_add_nc_u32_e32 v16, s28, v16
	v_add_nc_u32_e32 v17, s28, v17
	s_wait_dscnt 0x2
	v_mul_f64_e32 v[36:37], v[97:98], v[14:15]
	v_mul_f64_e32 v[38:39], v[95:96], v[14:15]
	v_and_b32_e32 v14, 31, v125
	v_and_b32_e32 v15, 0x1f0, v32
	ds_load_b128 v[107:110], v16 offset:1024
	ds_load_b128 v[20:23], v17 offset:1024
	v_and_b32_e32 v45, 31, v133
	v_and_b32_e32 v43, 0x1f0, v43
	v_lshl_add_u32 v14, v14, 4, 0
	v_add_nc_u32_e32 v32, s28, v15
	ds_load_b128 v[14:17], v14 offset:9600
	ds_load_b128 v[32:35], v32 offset:512
	v_add_nc_u32_e32 v43, s28, v43
	v_mul_f64_e32 v[63:64], v[57:58], v[63:64]
	v_lshlrev_b32_e32 v65, 6, v65
	s_lshl_b64 s[10:11], s[10:11], 4
	s_mul_u64 s[8:9], s[6:7], s[18:19]
	s_lshl_b64 s[2:3], s[2:3], 4
	s_wait_kmcnt 0x0
	s_add_nc_u64 s[0:1], s[0:1], s[10:11]
	s_wait_alu 0xfffe
	s_lshl_b64 s[8:9], s[8:9], 4
	s_add_nc_u64 s[0:1], s[0:1], s[2:3]
	s_wait_alu 0xfffe
	s_add_nc_u64 s[0:1], s[0:1], s[8:9]
	v_fma_f64 v[111:112], v[57:58], v[61:62], -v[111:112]
	v_fma_f64 v[125:126], v[76:77], v[70:71], -v[18:19]
	v_fma_f64 v[127:128], v[78:79], v[70:71], v[41:42]
	s_wait_dscnt 0x0
	v_mul_f64_e32 v[18:19], v[16:17], v[34:35]
	v_mul_f64_e32 v[41:42], v[14:15], v[34:35]
	v_lshl_add_u32 v34, v45, 4, 0
	v_fma_f64 v[129:130], v[95:96], v[12:13], -v[36:37]
	ds_load_b128 v[34:37], v34 offset:9600
	ds_load_b128 v[53:56], v43 offset:512
	v_add_nc_u32_e32 v43, v133, v47
	v_fma_f64 v[131:132], v[97:98], v[12:13], v[38:39]
	s_delay_alu instid0(VALU_DEP_2) | instskip(NEXT) | instid1(VALU_DEP_1)
	v_lshrrev_b32_e32 v45, 1, v43
	v_and_b32_e32 v45, 0x1f0, v45
	v_fma_f64 v[123:124], v[59:60], v[61:62], v[63:64]
	s_wait_dscnt 0x0
	v_mul_f64_e32 v[12:13], v[36:37], v[55:56]
	v_mul_f64_e32 v[38:39], v[34:35], v[55:56]
	v_fma_f64 v[133:134], v[14:15], v[32:33], -v[18:19]
	v_and_b32_e32 v14, 31, v43
	v_add_nc_u32_e32 v15, s28, v45
	v_fma_f64 v[135:136], v[16:17], v[32:33], v[41:42]
	v_add_nc_u32_e32 v41, v43, v47
	s_delay_alu instid0(VALU_DEP_4) | instskip(SKIP_4) | instid1(VALU_DEP_2)
	v_lshl_add_u32 v14, v14, 4, 0
	ds_load_b128 v[55:58], v15 offset:512
	ds_load_b128 v[59:62], v14 offset:9600
	v_lshrrev_b32_e32 v14, 6, v43
	v_lshrrev_b32_e32 v15, 6, v41
	v_and_b32_e32 v14, 0x1f0, v14
	s_delay_alu instid0(VALU_DEP_2) | instskip(NEXT) | instid1(VALU_DEP_2)
	v_and_b32_e32 v15, 0x1f0, v15
	v_add_nc_u32_e32 v14, s28, v14
	s_delay_alu instid0(VALU_DEP_2)
	v_add_nc_u32_e32 v16, s28, v15
	v_fma_f64 v[137:138], v[34:35], v[53:54], -v[12:13]
	v_fma_f64 v[78:79], v[36:37], v[53:54], v[38:39]
	v_lshrrev_b32_e32 v36, 1, v41
	s_wait_dscnt 0x0
	v_mul_f64_e32 v[32:33], v[61:62], v[57:58]
	v_mul_f64_e32 v[34:35], v[59:60], v[57:58]
	v_and_b32_e32 v37, 31, v41
	ds_load_b128 v[12:15], v14 offset:1024
	ds_load_b128 v[16:19], v16 offset:1024
	v_and_b32_e32 v36, 0x1f0, v36
	v_lshl_add_u32 v37, v37, 4, 0
	s_delay_alu instid0(VALU_DEP_2)
	v_add_nc_u32_e32 v36, s28, v36
	v_fma_f64 v[32:33], v[59:60], v[55:56], -v[32:33]
	v_fma_f64 v[34:35], v[61:62], v[55:56], v[34:35]
	ds_load_b128 v[53:56], v37 offset:9600
	ds_load_b128 v[57:60], v36 offset:512
	s_wait_dscnt 0x0
	v_mul_f64_e32 v[36:37], v[55:56], v[59:60]
	v_mul_f64_e32 v[38:39], v[53:54], v[59:60]
	s_delay_alu instid0(VALU_DEP_2) | instskip(NEXT) | instid1(VALU_DEP_2)
	v_fma_f64 v[36:37], v[53:54], v[57:58], -v[36:37]
	v_fma_f64 v[38:39], v[55:56], v[57:58], v[38:39]
	s_clause 0x1
	global_load_b128 v[53:56], v139, s[20:21] offset:192
	global_load_b128 v[57:60], v139, s[20:21] offset:208
	ds_load_2addr_b64 v[61:64], v40 offset0:80 offset1:200
	s_wait_loadcnt 0x1
	v_mul_f64_e32 v[41:42], v[8:9], v[55:56]
	s_wait_dscnt 0x0
	s_delay_alu instid0(VALU_DEP_1) | instskip(SKIP_1) | instid1(VALU_DEP_1)
	v_fma_f64 v[42:43], v[61:62], v[53:54], v[41:42]
	v_mul_f64_e32 v[40:41], v[61:62], v[55:56]
	v_fma_f64 v[46:47], v[8:9], v[53:54], -v[40:41]
	s_clause 0x1
	global_load_b128 v[53:56], v65, s[20:21] offset:192
	global_load_b128 v[95:98], v65, s[20:21] offset:208
	s_wait_loadcnt 0x1
	v_mul_f64_e32 v[8:9], v[10:11], v[55:56]
	s_delay_alu instid0(VALU_DEP_1)
	v_fma_f64 v[40:41], v[63:64], v[53:54], v[8:9]
	v_mul_f64_e32 v[8:9], v[63:64], v[55:56]
	ds_load_2addr_b64 v[61:64], v44 offset0:8 offset1:248
	v_fma_f64 v[8:9], v[10:11], v[53:54], -v[8:9]
	global_load_b128 v[53:56], v65, s[20:21] offset:176
	s_wait_loadcnt 0x0
	v_mul_f64_e32 v[10:11], v[6:7], v[55:56]
	s_wait_dscnt 0x0
	s_delay_alu instid0(VALU_DEP_1) | instskip(SKIP_1) | instid1(VALU_DEP_1)
	v_fma_f64 v[44:45], v[63:64], v[53:54], v[10:11]
	v_mul_f64_e32 v[10:11], v[63:64], v[55:56]
	v_fma_f64 v[10:11], v[6:7], v[53:54], -v[10:11]
	global_load_b128 v[53:56], v65, s[20:21] offset:160
	s_wait_loadcnt 0x0
	v_mul_f64_e32 v[6:7], v[4:5], v[55:56]
	v_mul_f64_e32 v[55:56], v[61:62], v[55:56]
	s_delay_alu instid0(VALU_DEP_2)
	v_fma_f64 v[6:7], v[61:62], v[53:54], v[6:7]
	ds_load_2addr_b64 v[61:64], v48 offset0:64 offset1:184
	v_fma_f64 v[4:5], v[4:5], v[53:54], -v[55:56]
	v_mul_f64_e32 v[53:54], v[0:1], v[59:60]
	s_wait_dscnt 0x0
	v_mul_f64_e32 v[59:60], v[61:62], v[59:60]
	s_delay_alu instid0(VALU_DEP_2) | instskip(NEXT) | instid1(VALU_DEP_2)
	v_fma_f64 v[54:55], v[61:62], v[57:58], v[53:54]
	v_fma_f64 v[56:57], v[0:1], v[57:58], -v[59:60]
	v_mul_f64_e32 v[0:1], v[2:3], v[97:98]
	s_delay_alu instid0(VALU_DEP_1) | instskip(SKIP_2) | instid1(VALU_DEP_2)
	v_fma_f64 v[70:71], v[63:64], v[95:96], v[0:1]
	v_mul_f64_e32 v[0:1], v[63:64], v[97:98]
	v_mul_f64_e32 v[97:98], v[133:134], v[105:106]
	v_fma_f64 v[76:77], v[2:3], v[95:96], -v[0:1]
	v_mul_f64_e32 v[0:1], v[115:116], v[51:52]
	v_mul_f64_e32 v[2:3], v[117:118], v[68:69]
	;; [unrolled: 1-line block ×4, first 2 shown]
	s_delay_alu instid0(VALU_DEP_4) | instskip(SKIP_4) | instid1(VALU_DEP_4)
	v_fma_f64 v[58:59], v[49:50], v[113:114], -v[0:1]
	v_mul_f64_e32 v[0:1], v[113:114], v[51:52]
	v_fma_f64 v[60:61], v[66:67], v[119:120], v[2:3]
	v_mul_f64_e32 v[2:3], v[121:122], v[89:90]
	v_mad_u32_u24 v114, 0x50, v85, v81
	v_fma_f64 v[64:65], v[49:50], v[115:116], v[0:1]
	v_mul_f64_e32 v[48:49], v[72:73], v[89:90]
	v_mul_f64_e32 v[50:51], v[111:112], v[93:94]
	v_fma_f64 v[2:3], v[87:88], v[72:73], -v[2:3]
	v_mul_f64_e32 v[0:1], v[119:120], v[68:69]
	v_add_nc_u32_e32 v115, 20, v114
	v_add_nc_u32_e32 v116, 40, v114
	v_add_f64_e64 v[119:120], v[40:41], -v[70:71]
	v_fma_f64 v[62:63], v[87:88], v[121:122], v[48:49]
	v_mul_f64_e32 v[48:49], v[123:124], v[93:94]
	global_load_b128 v[87:90], v139, s[20:21] offset:176
	v_fma_f64 v[72:73], v[91:92], v[123:124], v[50:51]
	v_fma_f64 v[0:1], v[66:67], v[117:118], -v[0:1]
	v_mul_f64_e32 v[66:67], v[129:130], v[109:110]
	v_add_nc_u32_e32 v117, 60, v114
	v_add_f64_e64 v[121:122], v[8:9], -v[76:77]
	v_fma_f64 v[52:53], v[91:92], v[111:112], -v[48:49]
	global_load_b128 v[91:94], v139, s[20:21] offset:160
	v_mul_f64_e32 v[48:49], v[127:128], v[101:102]
	v_fma_f64 v[66:67], v[107:108], v[131:132], v[66:67]
	s_delay_alu instid0(VALU_DEP_2) | instskip(SKIP_3) | instid1(VALU_DEP_3)
	v_fma_f64 v[50:51], v[99:100], v[125:126], -v[48:49]
	v_mul_f64_e32 v[48:49], v[125:126], v[101:102]
	v_mul_f64_e32 v[101:102], v[78:79], v[22:23]
	v_fma_f64 v[22:23], v[103:104], v[133:134], -v[95:96]
	v_fma_f64 v[68:69], v[99:100], v[127:128], v[48:49]
	v_mul_f64_e32 v[48:49], v[131:132], v[109:110]
	ds_load_b64 v[99:100], v75
	v_mad_co_u64_u32 v[109:110], null, s6, v80, 0
	v_fma_f64 v[101:102], v[20:21], v[137:138], -v[101:102]
	v_fma_f64 v[20:21], v[20:21], v[78:79], v[105:106]
	v_mad_co_u64_u32 v[105:106], null, s4, v86, 0
	v_fma_f64 v[48:49], v[107:108], v[129:130], -v[48:49]
	ds_load_b64 v[107:108], v74
	v_fma_f64 v[74:75], v[103:104], v[135:136], v[97:98]
	ds_load_b64 v[103:104], v83
	v_mov_b32_e32 v83, v110
	v_add_nc_u32_e32 v111, 20, v84
	v_add_nc_u32_e32 v112, 40, v84
	;; [unrolled: 1-line block ×3, first 2 shown]
	v_mad_co_u64_u32 v[78:79], null, s4, v84, 0
	v_mad_co_u64_u32 v[80:81], null, s7, v80, v[83:84]
	v_add_f64_e32 v[129:130], v[6:7], v[70:71]
	s_delay_alu instid0(VALU_DEP_2) | instskip(SKIP_1) | instid1(VALU_DEP_1)
	v_mad_co_u64_u32 v[83:84], null, s5, v84, v[79:80]
	v_mov_b32_e32 v110, v80
	v_lshlrev_b64_e32 v[109:110], 4, v[109:110]
	s_delay_alu instid0(VALU_DEP_1) | instskip(SKIP_1) | instid1(VALU_DEP_2)
	v_add_co_u32 v141, vcc_lo, s0, v109
	s_wait_alu 0xfffd
	v_add_co_ci_u32_e32 v142, vcc_lo, s1, v110, vcc_lo
	s_wait_dscnt 0x0
	v_fma_f64 v[129:130], v[129:130], -0.5, v[103:104]
	s_wait_loadcnt 0x1
	v_mul_f64_e32 v[95:96], v[30:31], v[89:90]
	v_mul_f64_e32 v[89:90], v[99:100], v[89:90]
	s_wait_loadcnt 0x0
	v_mul_f64_e32 v[97:98], v[28:29], v[93:94]
	v_mul_f64_e32 v[93:94], v[107:108], v[93:94]
	s_delay_alu instid0(VALU_DEP_4) | instskip(NEXT) | instid1(VALU_DEP_4)
	v_fma_f64 v[95:96], v[99:100], v[87:88], v[95:96]
	v_fma_f64 v[30:31], v[30:31], v[87:88], -v[89:90]
	v_mad_co_u64_u32 v[87:88], null, s4, v111, 0
	v_mad_co_u64_u32 v[89:90], null, s4, v112, 0
	;; [unrolled: 1-line block ×3, first 2 shown]
	s_delay_alu instid0(VALU_DEP_3) | instskip(NEXT) | instid1(VALU_DEP_2)
	v_mov_b32_e32 v81, v88
	v_dual_mov_b32 v79, v90 :: v_dual_mov_b32 v80, v100
	s_delay_alu instid0(VALU_DEP_2) | instskip(NEXT) | instid1(VALU_DEP_1)
	v_mad_co_u64_u32 v[84:85], null, s5, v111, v[81:82]
	v_mov_b32_e32 v88, v84
	s_delay_alu instid0(VALU_DEP_1)
	v_lshlrev_b64_e32 v[87:88], 4, v[87:88]
	v_fma_f64 v[97:98], v[107:108], v[91:92], v[97:98]
	v_fma_f64 v[28:29], v[28:29], v[91:92], -v[93:94]
	v_mad_co_u64_u32 v[93:94], null, s5, v112, v[79:80]
	v_mad_co_u64_u32 v[80:81], null, s5, v113, v[80:81]
	v_mov_b32_e32 v81, v106
	v_mov_b32_e32 v79, v83
	v_mad_co_u64_u32 v[107:108], null, s4, v115, 0
	v_mad_co_u64_u32 v[83:84], null, s4, v116, 0
	s_delay_alu instid0(VALU_DEP_4)
	v_mad_co_u64_u32 v[85:86], null, s5, v86, v[81:82]
	v_mov_b32_e32 v90, v93
	v_mad_co_u64_u32 v[93:94], null, s4, v117, 0
	v_mov_b32_e32 v100, v80
	v_dual_mov_b32 v80, v108 :: v_dual_mov_b32 v81, v84
	v_mad_co_u64_u32 v[91:92], null, s4, v114, 0
	v_mov_b32_e32 v106, v85
	v_add_f64_e64 v[111:112], v[54:55], -v[42:43]
	s_delay_alu instid0(VALU_DEP_4) | instskip(SKIP_4) | instid1(VALU_DEP_4)
	v_mad_co_u64_u32 v[84:85], null, s5, v115, v[80:81]
	v_mov_b32_e32 v80, v94
	v_mad_co_u64_u32 v[85:86], null, s5, v116, v[81:82]
	v_lshlrev_b64_e32 v[78:79], 4, v[78:79]
	v_lshlrev_b64_e32 v[89:90], 4, v[89:90]
	v_mad_co_u64_u32 v[80:81], null, s5, v117, v[80:81]
	v_mov_b32_e32 v81, v92
	v_lshlrev_b64_e32 v[99:100], 4, v[99:100]
	v_add_co_u32 v78, vcc_lo, v141, v78
	s_wait_alu 0xfffd
	v_add_co_ci_u32_e32 v79, vcc_lo, v142, v79, vcc_lo
	v_mad_co_u64_u32 v[108:109], null, s5, v114, v[81:82]
	v_add_f64_e64 v[109:110], v[97:98], -v[95:96]
	v_dual_mov_b32 v94, v80 :: v_dual_add_nc_u32 v81, 0x50, v114
	v_add_f64_e64 v[113:114], v[42:43], -v[54:55]
	v_add_f64_e64 v[115:116], v[46:47], -v[56:57]
	;; [unrolled: 1-line block ×3, first 2 shown]
	v_mov_b32_e32 v92, v108
	v_mov_b32_e32 v108, v84
	;; [unrolled: 1-line block ×3, first 2 shown]
	v_mad_co_u64_u32 v[85:86], null, s4, v81, 0
	v_add_f64_e32 v[123:124], v[28:29], v[56:57]
	v_add_f64_e32 v[125:126], v[95:96], v[42:43]
	;; [unrolled: 1-line block ×3, first 2 shown]
	v_lshlrev_b64_e32 v[105:106], 4, v[105:106]
	v_lshlrev_b64_e32 v[91:92], 4, v[91:92]
	v_mov_b32_e32 v80, v86
	s_delay_alu instid0(VALU_DEP_1) | instskip(NEXT) | instid1(VALU_DEP_1)
	v_mad_co_u64_u32 v[80:81], null, s5, v81, v[80:81]
	v_mov_b32_e32 v86, v80
	v_add_co_u32 v80, vcc_lo, v141, v87
	s_wait_alu 0xfffd
	v_add_co_ci_u32_e32 v81, vcc_lo, v142, v88, vcc_lo
	v_add_co_u32 v87, vcc_lo, v141, v89
	s_wait_alu 0xfffd
	v_add_co_ci_u32_e32 v88, vcc_lo, v142, v90, vcc_lo
	v_add_co_u32 v89, vcc_lo, v141, v99
	s_wait_alu 0xfffd
	v_add_co_ci_u32_e32 v90, vcc_lo, v142, v100, vcc_lo
	v_add_f64_e64 v[99:100], v[28:29], -v[30:31]
	v_add_f64_e32 v[109:110], v[109:110], v[111:112]
	v_add_f64_e64 v[111:112], v[56:57], -v[46:47]
	v_fma_f64 v[123:124], v[123:124], -0.5, v[26:27]
	s_delay_alu instid0(VALU_DEP_2) | instskip(SKIP_1) | instid1(VALU_DEP_1)
	v_add_f64_e32 v[99:100], v[99:100], v[111:112]
	v_add_f64_e64 v[111:112], v[95:96], -v[97:98]
	v_add_f64_e32 v[111:112], v[111:112], v[113:114]
	v_add_f64_e64 v[113:114], v[30:31], -v[28:29]
	s_delay_alu instid0(VALU_DEP_1) | instskip(SKIP_1) | instid1(VALU_DEP_1)
	v_add_f64_e32 v[113:114], v[113:114], v[115:116]
	v_add_f64_e64 v[115:116], v[6:7], -v[44:45]
	v_add_f64_e32 v[115:116], v[115:116], v[117:118]
	v_add_f64_e64 v[117:118], v[44:45], -v[6:7]
	s_delay_alu instid0(VALU_DEP_1) | instskip(SKIP_1) | instid1(VALU_DEP_1)
	v_add_f64_e32 v[117:118], v[117:118], v[119:120]
	v_add_f64_e64 v[119:120], v[10:11], -v[4:5]
	v_add_f64_e32 v[119:120], v[119:120], v[121:122]
	v_add_f64_e32 v[121:122], v[30:31], v[46:47]
	s_delay_alu instid0(VALU_DEP_1) | instskip(SKIP_2) | instid1(VALU_DEP_2)
	v_fma_f64 v[121:122], v[121:122], -0.5, v[26:27]
	v_add_f64_e32 v[26:27], v[26:27], v[28:29]
	v_add_f64_e64 v[28:29], v[28:29], -v[56:57]
	v_add_f64_e32 v[26:27], v[26:27], v[30:31]
	v_add_f64_e64 v[30:31], v[30:31], -v[46:47]
	s_delay_alu instid0(VALU_DEP_2)
	v_add_f64_e32 v[26:27], v[26:27], v[46:47]
	ds_load_b64 v[46:47], v82
	s_wait_dscnt 0x0
	v_fma_f64 v[125:126], v[125:126], -0.5, v[46:47]
	v_fma_f64 v[127:128], v[127:128], -0.5, v[46:47]
	v_add_f64_e32 v[46:47], v[46:47], v[97:98]
	v_add_f64_e64 v[97:98], v[97:98], -v[54:55]
	s_delay_alu instid0(VALU_DEP_4) | instskip(SKIP_1) | instid1(VALU_DEP_4)
	v_fma_f64 v[131:132], v[28:29], s[12:13], v[125:126]
	v_fma_f64 v[125:126], v[28:29], s[14:15], v[125:126]
	v_add_f64_e32 v[46:47], v[46:47], v[95:96]
	v_add_f64_e64 v[95:96], v[95:96], -v[42:43]
	v_fma_f64 v[133:134], v[97:98], s[14:15], v[121:122]
	v_fma_f64 v[121:122], v[97:98], s[12:13], v[121:122]
	s_delay_alu instid0(VALU_DEP_4) | instskip(SKIP_1) | instid1(VALU_DEP_1)
	v_add_f64_e32 v[42:43], v[46:47], v[42:43]
	v_add_f64_e32 v[46:47], v[44:45], v[40:41]
	v_fma_f64 v[46:47], v[46:47], -0.5, v[103:104]
	v_add_f64_e32 v[103:104], v[103:104], v[6:7]
	v_add_f64_e64 v[6:7], v[6:7], -v[70:71]
	s_delay_alu instid0(VALU_DEP_2) | instskip(SKIP_1) | instid1(VALU_DEP_2)
	v_add_f64_e32 v[103:104], v[103:104], v[44:45]
	v_add_f64_e64 v[44:45], v[44:45], -v[40:41]
	v_add_f64_e32 v[40:41], v[103:104], v[40:41]
	v_fma_f64 v[103:104], v[30:31], s[14:15], v[127:128]
	v_fma_f64 v[127:128], v[30:31], s[12:13], v[127:128]
	s_delay_alu instid0(VALU_DEP_3) | instskip(NEXT) | instid1(VALU_DEP_3)
	v_add_f64_e32 v[40:41], v[40:41], v[70:71]
	v_fma_f64 v[103:104], v[28:29], s[22:23], v[103:104]
	s_delay_alu instid0(VALU_DEP_3) | instskip(SKIP_2) | instid1(VALU_DEP_3)
	v_fma_f64 v[28:29], v[28:29], s[24:25], v[127:128]
	v_fma_f64 v[127:128], v[95:96], s[12:13], v[123:124]
	;; [unrolled: 1-line block ×4, first 2 shown]
	s_delay_alu instid0(VALU_DEP_3) | instskip(NEXT) | instid1(VALU_DEP_3)
	v_fma_f64 v[127:128], v[97:98], s[24:25], v[127:128]
	v_fma_f64 v[97:98], v[97:98], s[22:23], v[123:124]
	;; [unrolled: 1-line block ×6, first 2 shown]
	v_add_f64_e32 v[121:122], v[10:11], v[8:9]
	v_add_f64_e32 v[131:132], v[4:5], v[76:77]
	v_add_f64_e64 v[133:134], v[10:11], -v[8:9]
	v_fma_f64 v[70:71], v[113:114], s[26:27], v[97:98]
	v_fma_f64 v[30:31], v[109:110], s[26:27], v[30:31]
	;; [unrolled: 1-line block ×4, first 2 shown]
	v_fma_f64 v[121:122], v[121:122], -0.5, v[24:25]
	v_fma_f64 v[131:132], v[131:132], -0.5, v[24:25]
	v_add_f64_e32 v[24:25], v[24:25], v[4:5]
	v_fma_f64 v[135:136], v[133:134], s[14:15], v[129:130]
	v_fma_f64 v[129:130], v[133:134], s[12:13], v[129:130]
	;; [unrolled: 1-line block ×4, first 2 shown]
	v_add_f64_e32 v[24:25], v[24:25], v[10:11]
	v_add_f64_e64 v[10:11], v[4:5], -v[10:11]
	v_add_f64_e64 v[4:5], v[4:5], -v[76:77]
	s_delay_alu instid0(VALU_DEP_3) | instskip(SKIP_1) | instid1(VALU_DEP_3)
	v_add_f64_e32 v[24:25], v[24:25], v[8:9]
	v_add_f64_e64 v[8:9], v[76:77], -v[8:9]
	v_fma_f64 v[137:138], v[4:5], s[12:13], v[46:47]
	v_fma_f64 v[46:47], v[4:5], s[14:15], v[46:47]
	;; [unrolled: 1-line block ×6, first 2 shown]
	v_add_f64_e32 v[24:25], v[24:25], v[76:77]
	v_add_f64_e32 v[8:9], v[10:11], v[8:9]
	;; [unrolled: 1-line block ×3, first 2 shown]
	v_fma_f64 v[46:47], v[133:134], s[24:25], v[46:47]
	v_add_f64_e32 v[26:27], v[42:43], v[54:55]
	v_fma_f64 v[54:55], v[111:112], s[26:27], v[103:104]
	v_fma_f64 v[129:130], v[6:7], s[24:25], v[129:130]
	;; [unrolled: 1-line block ×5, first 2 shown]
	v_mul_f64_e32 v[4:5], v[32:33], v[14:15]
	v_fma_f64 v[42:43], v[44:45], s[24:25], v[139:140]
	v_fma_f64 v[44:45], v[44:45], s[22:23], v[121:122]
	;; [unrolled: 1-line block ×8, first 2 shown]
	v_mul_f64_e32 v[6:7], v[36:37], v[18:19]
	v_fma_f64 v[113:114], v[115:116], s[26:27], v[131:132]
	v_fma_f64 v[115:116], v[12:13], v[34:35], v[4:5]
	v_mul_f64_e32 v[4:5], v[34:35], v[14:15]
	v_fma_f64 v[42:43], v[8:9], s[26:27], v[42:43]
	v_fma_f64 v[34:35], v[8:9], s[26:27], v[44:45]
	v_mul_f64_e32 v[8:9], v[10:11], v[64:65]
	v_fma_f64 v[14:15], v[16:17], v[38:39], v[6:7]
	v_mul_f64_e32 v[6:7], v[38:39], v[18:19]
	v_mul_f64_e32 v[18:19], v[26:27], v[64:65]
	v_fma_f64 v[44:45], v[12:13], v[32:33], -v[4:5]
	v_mul_f64_e32 v[32:33], v[56:57], v[62:63]
	v_mul_f64_e32 v[64:65], v[30:31], v[74:75]
	;; [unrolled: 1-line block ×4, first 2 shown]
	v_fma_f64 v[38:39], v[16:17], v[36:37], -v[6:7]
	v_mul_f64_e32 v[16:17], v[40:41], v[72:73]
	v_mul_f64_e32 v[36:37], v[54:55], v[62:63]
	;; [unrolled: 1-line block ×3, first 2 shown]
	v_fma_f64 v[6:7], v[26:27], v[58:59], v[8:9]
	v_fma_f64 v[4:5], v[10:11], v[58:59], -v[18:19]
	v_mul_f64_e32 v[18:19], v[97:98], v[60:61]
	v_mul_f64_e32 v[26:27], v[76:77], v[60:61]
	;; [unrolled: 1-line block ×11, first 2 shown]
	v_fma_f64 v[10:11], v[40:41], v[52:53], v[12:13]
	v_fma_f64 v[40:41], v[46:47], v[38:39], v[117:118]
	v_fma_f64 v[8:9], v[24:25], v[52:53], -v[16:17]
	v_fma_f64 v[16:17], v[56:57], v[2:3], -v[36:37]
	v_fma_f64 v[24:25], v[30:31], v[22:23], v[62:63]
	v_fma_f64 v[22:23], v[95:96], v[22:23], -v[64:65]
	v_lshlrev_b64_e32 v[46:47], 4, v[93:94]
	v_fma_f64 v[14:15], v[76:77], v[0:1], v[18:19]
	v_fma_f64 v[12:13], v[97:98], v[0:1], -v[26:27]
	v_fma_f64 v[18:19], v[54:55], v[2:3], v[32:33]
	v_fma_f64 v[2:3], v[28:29], v[50:51], v[58:59]
	v_fma_f64 v[0:1], v[70:71], v[50:51], -v[60:61]
	v_fma_f64 v[38:39], v[34:35], v[38:39], -v[119:120]
	v_fma_f64 v[36:37], v[103:104], v[44:45], v[74:75]
	v_fma_f64 v[34:35], v[111:112], v[44:45], -v[115:116]
	v_fma_f64 v[32:33], v[99:100], v[101:102], v[72:73]
	;; [unrolled: 2-line block ×3, first 2 shown]
	v_fma_f64 v[26:27], v[42:43], v[48:49], -v[66:67]
	v_add_co_u32 v20, vcc_lo, v141, v105
	v_lshlrev_b64_e32 v[42:43], 4, v[107:108]
	s_wait_alu 0xfffd
	v_add_co_ci_u32_e32 v21, vcc_lo, v142, v106, vcc_lo
	v_lshlrev_b64_e32 v[44:45], 4, v[83:84]
	v_add_co_u32 v50, vcc_lo, v141, v91
	s_wait_alu 0xfffd
	v_add_co_ci_u32_e32 v51, vcc_lo, v142, v92, vcc_lo
	v_add_co_u32 v42, vcc_lo, v141, v42
	s_wait_alu 0xfffd
	v_add_co_ci_u32_e32 v43, vcc_lo, v142, v43, vcc_lo
	v_lshlrev_b64_e32 v[48:49], 4, v[85:86]
	v_add_co_u32 v44, vcc_lo, v141, v44
	s_wait_alu 0xfffd
	v_add_co_ci_u32_e32 v45, vcc_lo, v142, v45, vcc_lo
	v_add_co_u32 v46, vcc_lo, v141, v46
	s_wait_alu 0xfffd
	v_add_co_ci_u32_e32 v47, vcc_lo, v142, v47, vcc_lo
	;; [unrolled: 3-line block ×3, first 2 shown]
	s_clause 0x9
	global_store_b128 v[78:79], v[4:7], off
	global_store_b128 v[80:81], v[22:25], off
	;; [unrolled: 1-line block ×10, first 2 shown]
.LBB0_18:
	s_nop 0
	s_sendmsg sendmsg(MSG_DEALLOC_VGPRS)
	s_endpgm
	.section	.rodata,"a",@progbits
	.p2align	6, 0x0
	.amdhsa_kernel fft_rtc_fwd_len100_factors_10_2_5_wgs_120_tpt_10_halfLds_dim3_dp_op_CI_CI_sbcc_twdbase5_3step_dirReg
		.amdhsa_group_segment_fixed_size 0
		.amdhsa_private_segment_fixed_size 0
		.amdhsa_kernarg_size 104
		.amdhsa_user_sgpr_count 2
		.amdhsa_user_sgpr_dispatch_ptr 0
		.amdhsa_user_sgpr_queue_ptr 0
		.amdhsa_user_sgpr_kernarg_segment_ptr 1
		.amdhsa_user_sgpr_dispatch_id 0
		.amdhsa_user_sgpr_private_segment_size 0
		.amdhsa_wavefront_size32 1
		.amdhsa_uses_dynamic_stack 0
		.amdhsa_enable_private_segment 0
		.amdhsa_system_sgpr_workgroup_id_x 1
		.amdhsa_system_sgpr_workgroup_id_y 0
		.amdhsa_system_sgpr_workgroup_id_z 0
		.amdhsa_system_sgpr_workgroup_info 0
		.amdhsa_system_vgpr_workitem_id 0
		.amdhsa_next_free_vgpr 143
		.amdhsa_next_free_sgpr 36
		.amdhsa_reserve_vcc 1
		.amdhsa_float_round_mode_32 0
		.amdhsa_float_round_mode_16_64 0
		.amdhsa_float_denorm_mode_32 3
		.amdhsa_float_denorm_mode_16_64 3
		.amdhsa_fp16_overflow 0
		.amdhsa_workgroup_processor_mode 1
		.amdhsa_memory_ordered 1
		.amdhsa_forward_progress 0
		.amdhsa_round_robin_scheduling 0
		.amdhsa_exception_fp_ieee_invalid_op 0
		.amdhsa_exception_fp_denorm_src 0
		.amdhsa_exception_fp_ieee_div_zero 0
		.amdhsa_exception_fp_ieee_overflow 0
		.amdhsa_exception_fp_ieee_underflow 0
		.amdhsa_exception_fp_ieee_inexact 0
		.amdhsa_exception_int_div_zero 0
	.end_amdhsa_kernel
	.text
.Lfunc_end0:
	.size	fft_rtc_fwd_len100_factors_10_2_5_wgs_120_tpt_10_halfLds_dim3_dp_op_CI_CI_sbcc_twdbase5_3step_dirReg, .Lfunc_end0-fft_rtc_fwd_len100_factors_10_2_5_wgs_120_tpt_10_halfLds_dim3_dp_op_CI_CI_sbcc_twdbase5_3step_dirReg
                                        ; -- End function
	.section	.AMDGPU.csdata,"",@progbits
; Kernel info:
; codeLenInByte = 8832
; NumSgprs: 38
; NumVgprs: 143
; ScratchSize: 0
; MemoryBound: 1
; FloatMode: 240
; IeeeMode: 1
; LDSByteSize: 0 bytes/workgroup (compile time only)
; SGPRBlocks: 4
; VGPRBlocks: 17
; NumSGPRsForWavesPerEU: 38
; NumVGPRsForWavesPerEU: 143
; Occupancy: 10
; WaveLimiterHint : 1
; COMPUTE_PGM_RSRC2:SCRATCH_EN: 0
; COMPUTE_PGM_RSRC2:USER_SGPR: 2
; COMPUTE_PGM_RSRC2:TRAP_HANDLER: 0
; COMPUTE_PGM_RSRC2:TGID_X_EN: 1
; COMPUTE_PGM_RSRC2:TGID_Y_EN: 0
; COMPUTE_PGM_RSRC2:TGID_Z_EN: 0
; COMPUTE_PGM_RSRC2:TIDIG_COMP_CNT: 0
	.text
	.p2alignl 7, 3214868480
	.fill 96, 4, 3214868480
	.type	__hip_cuid_fe9f98816080e25c,@object ; @__hip_cuid_fe9f98816080e25c
	.section	.bss,"aw",@nobits
	.globl	__hip_cuid_fe9f98816080e25c
__hip_cuid_fe9f98816080e25c:
	.byte	0                               ; 0x0
	.size	__hip_cuid_fe9f98816080e25c, 1

	.ident	"AMD clang version 19.0.0git (https://github.com/RadeonOpenCompute/llvm-project roc-6.4.0 25133 c7fe45cf4b819c5991fe208aaa96edf142730f1d)"
	.section	".note.GNU-stack","",@progbits
	.addrsig
	.addrsig_sym __hip_cuid_fe9f98816080e25c
	.amdgpu_metadata
---
amdhsa.kernels:
  - .args:
      - .actual_access:  read_only
        .address_space:  global
        .offset:         0
        .size:           8
        .value_kind:     global_buffer
      - .address_space:  global
        .offset:         8
        .size:           8
        .value_kind:     global_buffer
      - .actual_access:  read_only
        .address_space:  global
        .offset:         16
        .size:           8
        .value_kind:     global_buffer
      - .actual_access:  read_only
        .address_space:  global
        .offset:         24
        .size:           8
        .value_kind:     global_buffer
      - .actual_access:  read_only
        .address_space:  global
        .offset:         32
        .size:           8
        .value_kind:     global_buffer
      - .offset:         40
        .size:           8
        .value_kind:     by_value
      - .actual_access:  read_only
        .address_space:  global
        .offset:         48
        .size:           8
        .value_kind:     global_buffer
      - .actual_access:  read_only
        .address_space:  global
        .offset:         56
        .size:           8
        .value_kind:     global_buffer
      - .offset:         64
        .size:           4
        .value_kind:     by_value
      - .actual_access:  read_only
        .address_space:  global
        .offset:         72
        .size:           8
        .value_kind:     global_buffer
      - .actual_access:  read_only
        .address_space:  global
        .offset:         80
        .size:           8
        .value_kind:     global_buffer
      - .actual_access:  read_only
        .address_space:  global
        .offset:         88
        .size:           8
        .value_kind:     global_buffer
      - .actual_access:  write_only
        .address_space:  global
        .offset:         96
        .size:           8
        .value_kind:     global_buffer
    .group_segment_fixed_size: 0
    .kernarg_segment_align: 8
    .kernarg_segment_size: 104
    .language:       OpenCL C
    .language_version:
      - 2
      - 0
    .max_flat_workgroup_size: 120
    .name:           fft_rtc_fwd_len100_factors_10_2_5_wgs_120_tpt_10_halfLds_dim3_dp_op_CI_CI_sbcc_twdbase5_3step_dirReg
    .private_segment_fixed_size: 0
    .sgpr_count:     38
    .sgpr_spill_count: 0
    .symbol:         fft_rtc_fwd_len100_factors_10_2_5_wgs_120_tpt_10_halfLds_dim3_dp_op_CI_CI_sbcc_twdbase5_3step_dirReg.kd
    .uniform_work_group_size: 1
    .uses_dynamic_stack: false
    .vgpr_count:     143
    .vgpr_spill_count: 0
    .wavefront_size: 32
    .workgroup_processor_mode: 1
amdhsa.target:   amdgcn-amd-amdhsa--gfx1201
amdhsa.version:
  - 1
  - 2
...

	.end_amdgpu_metadata
